;; amdgpu-corpus repo=zjin-lcf/HeCBench kind=compiled arch=gfx90a opt=O3
	.text
	.amdgcn_target "amdgcn-amd-amdhsa--gfx90a"
	.amdhsa_code_object_version 6
	.section	.text._Z19uniform_fill_kernelIfEvPT_mffj,"axG",@progbits,_Z19uniform_fill_kernelIfEvPT_mffj,comdat
	.protected	_Z19uniform_fill_kernelIfEvPT_mffj ; -- Begin function _Z19uniform_fill_kernelIfEvPT_mffj
	.globl	_Z19uniform_fill_kernelIfEvPT_mffj
	.p2align	8
	.type	_Z19uniform_fill_kernelIfEvPT_mffj,@function
_Z19uniform_fill_kernelIfEvPT_mffj:     ; @_Z19uniform_fill_kernelIfEvPT_mffj
; %bb.0:
	s_load_dword s7, s[4:5], 0x2c
	s_load_dwordx4 s[0:3], s[4:5], 0x0
	v_mov_b32_e32 v1, 0
	v_mov_b32_e32 v2, s6
	s_waitcnt lgkmcnt(0)
	s_and_b32 s7, s7, 0xffff
	v_mad_u64_u32 v[0:1], s[6:7], s7, v2, v[0:1]
	v_cmp_gt_u64_e32 vcc, s[2:3], v[0:1]
	s_and_saveexec_b64 s[2:3], vcc
	s_cbranch_execz .LBB0_2
; %bb.1:
	s_load_dwordx4 s[4:7], s[4:5], 0x10
	v_lshlrev_b64 v[2:3], 2, v[0:1]
	s_waitcnt lgkmcnt(0)
	v_xor_b32_e32 v0, s6, v0
	v_lshlrev_b32_e32 v1, 13, v0
	v_xor_b32_e32 v0, v1, v0
	v_lshrrev_b32_e32 v1, 17, v0
	v_xor_b32_e32 v0, v1, v0
	v_lshlrev_b32_e32 v1, 5, v0
	v_xor_b32_e32 v0, v1, v0
	v_lshrrev_b32_e32 v0, 8, v0
	v_cvt_f32_u32_e32 v0, v0
	v_mov_b32_e32 v4, s4
	v_sub_f32_e32 v4, s5, v4
	v_mov_b32_e32 v1, s1
	v_mul_f32_e32 v0, 0x33800000, v0
	v_fma_f32 v4, v4, v0, s4
	v_add_co_u32_e32 v0, vcc, s0, v2
	v_addc_co_u32_e32 v1, vcc, v1, v3, vcc
	global_store_dword v[0:1], v4, off
.LBB0_2:
	s_endpgm
	.section	.rodata,"a",@progbits
	.p2align	6, 0x0
	.amdhsa_kernel _Z19uniform_fill_kernelIfEvPT_mffj
		.amdhsa_group_segment_fixed_size 0
		.amdhsa_private_segment_fixed_size 0
		.amdhsa_kernarg_size 288
		.amdhsa_user_sgpr_count 6
		.amdhsa_user_sgpr_private_segment_buffer 1
		.amdhsa_user_sgpr_dispatch_ptr 0
		.amdhsa_user_sgpr_queue_ptr 0
		.amdhsa_user_sgpr_kernarg_segment_ptr 1
		.amdhsa_user_sgpr_dispatch_id 0
		.amdhsa_user_sgpr_flat_scratch_init 0
		.amdhsa_user_sgpr_kernarg_preload_length 0
		.amdhsa_user_sgpr_kernarg_preload_offset 0
		.amdhsa_user_sgpr_private_segment_size 0
		.amdhsa_uses_dynamic_stack 0
		.amdhsa_system_sgpr_private_segment_wavefront_offset 0
		.amdhsa_system_sgpr_workgroup_id_x 1
		.amdhsa_system_sgpr_workgroup_id_y 0
		.amdhsa_system_sgpr_workgroup_id_z 0
		.amdhsa_system_sgpr_workgroup_info 0
		.amdhsa_system_vgpr_workitem_id 0
		.amdhsa_next_free_vgpr 5
		.amdhsa_next_free_sgpr 8
		.amdhsa_accum_offset 8
		.amdhsa_reserve_vcc 1
		.amdhsa_reserve_flat_scratch 0
		.amdhsa_float_round_mode_32 0
		.amdhsa_float_round_mode_16_64 0
		.amdhsa_float_denorm_mode_32 3
		.amdhsa_float_denorm_mode_16_64 3
		.amdhsa_dx10_clamp 1
		.amdhsa_ieee_mode 1
		.amdhsa_fp16_overflow 0
		.amdhsa_tg_split 0
		.amdhsa_exception_fp_ieee_invalid_op 0
		.amdhsa_exception_fp_denorm_src 0
		.amdhsa_exception_fp_ieee_div_zero 0
		.amdhsa_exception_fp_ieee_overflow 0
		.amdhsa_exception_fp_ieee_underflow 0
		.amdhsa_exception_fp_ieee_inexact 0
		.amdhsa_exception_int_div_zero 0
	.end_amdhsa_kernel
	.section	.text._Z19uniform_fill_kernelIfEvPT_mffj,"axG",@progbits,_Z19uniform_fill_kernelIfEvPT_mffj,comdat
.Lfunc_end0:
	.size	_Z19uniform_fill_kernelIfEvPT_mffj, .Lfunc_end0-_Z19uniform_fill_kernelIfEvPT_mffj
                                        ; -- End function
	.section	.AMDGPU.csdata,"",@progbits
; Kernel info:
; codeLenInByte = 160
; NumSgprs: 12
; NumVgprs: 5
; NumAgprs: 0
; TotalNumVgprs: 5
; ScratchSize: 0
; MemoryBound: 0
; FloatMode: 240
; IeeeMode: 1
; LDSByteSize: 0 bytes/workgroup (compile time only)
; SGPRBlocks: 1
; VGPRBlocks: 0
; NumSGPRsForWavesPerEU: 12
; NumVGPRsForWavesPerEU: 5
; AccumOffset: 8
; Occupancy: 8
; WaveLimiterHint : 0
; COMPUTE_PGM_RSRC2:SCRATCH_EN: 0
; COMPUTE_PGM_RSRC2:USER_SGPR: 6
; COMPUTE_PGM_RSRC2:TRAP_HANDLER: 0
; COMPUTE_PGM_RSRC2:TGID_X_EN: 1
; COMPUTE_PGM_RSRC2:TGID_Y_EN: 0
; COMPUTE_PGM_RSRC2:TGID_Z_EN: 0
; COMPUTE_PGM_RSRC2:TIDIG_COMP_CNT: 0
; COMPUTE_PGM_RSRC3_GFX90A:ACCUM_OFFSET: 1
; COMPUTE_PGM_RSRC3_GFX90A:TG_SPLIT: 0
	.section	.text._Z24merge_attn_states_kernelIfLj128EEvPT_PKS0_S3_PfPKfS6_jjj,"axG",@progbits,_Z24merge_attn_states_kernelIfLj128EEvPT_PKS0_S3_PfPKfS6_jjj,comdat
	.protected	_Z24merge_attn_states_kernelIfLj128EEvPT_PKS0_S3_PfPKfS6_jjj ; -- Begin function _Z24merge_attn_states_kernelIfLj128EEvPT_PKS0_S3_PfPKfS6_jjj
	.globl	_Z24merge_attn_states_kernelIfLj128EEvPT_PKS0_S3_PfPKfS6_jjj
	.p2align	8
	.type	_Z24merge_attn_states_kernelIfLj128EEvPT_PKS0_S3_PfPKfS6_jjj,@function
_Z24merge_attn_states_kernelIfLj128EEvPT_PKS0_S3_PfPKfS6_jjj: ; @_Z24merge_attn_states_kernelIfLj128EEvPT_PKS0_S3_PfPKfS6_jjj
; %bb.0:
	s_load_dwordx4 s[0:3], s[4:5], 0x30
	v_lshl_add_u32 v4, s6, 7, v0
	s_waitcnt lgkmcnt(0)
	s_lshr_b32 s3, s2, 2
	s_mul_i32 s0, s1, s0
	s_mul_i32 s0, s0, s3
	v_cmp_gt_u32_e32 vcc, s0, v4
	s_and_saveexec_b64 s[0:1], vcc
	s_cbranch_execz .LBB1_5
; %bb.1:
	v_cvt_f32_u32_e32 v0, s3
	s_sub_i32 s6, 0, s3
	s_load_dwordx4 s[8:11], s[4:5], 0x18
	s_load_dwordx2 s[0:1], s[4:5], 0x28
	v_mov_b32_e32 v3, 0
	v_rcp_iflag_f32_e32 v0, v0
	s_mov_b32 s7, 0x42b17218
	s_waitcnt lgkmcnt(0)
	v_mov_b32_e32 v5, s11
	v_mov_b32_e32 v9, 0x7f800000
	v_mul_f32_e32 v0, 0x4f7ffffe, v0
	v_cvt_u32_f32_e32 v0, v0
	v_mul_lo_u32 v1, s6, v0
	v_mul_hi_u32 v1, v0, v1
	v_add_u32_e32 v0, v0, v1
	v_mul_hi_u32 v0, v4, v0
	v_mul_lo_u32 v1, v0, s3
	v_sub_u32_e32 v1, v4, v1
	v_add_u32_e32 v2, 1, v0
	v_cmp_le_u32_e32 vcc, s3, v1
	v_cndmask_b32_e32 v0, v0, v2, vcc
	v_subrev_u32_e32 v2, s3, v1
	v_cndmask_b32_e32 v1, v1, v2, vcc
	v_add_u32_e32 v2, 1, v0
	v_cmp_le_u32_e32 vcc, s3, v1
	v_cndmask_b32_e32 v2, v0, v2, vcc
	v_lshlrev_b64 v[0:1], 2, v[2:3]
	v_add_co_u32_e32 v6, vcc, s10, v0
	v_addc_co_u32_e32 v7, vcc, v5, v1, vcc
	global_load_dword v5, v[6:7], off
	v_mov_b32_e32 v7, s1
	v_add_co_u32_e32 v6, vcc, s0, v0
	v_addc_co_u32_e32 v7, vcc, v7, v1, vcc
	global_load_dword v6, v[6:7], off
	s_mov_b32 s0, 0x7f800000
	v_mov_b32_e32 v7, 0xff800000
	s_mov_b32 s1, 0x3fb8aa3b
	s_mov_b32 s6, 0xc2ce8ed0
	v_mul_lo_u32 v8, v2, s3
	v_sub_u32_e32 v4, v4, v8
	s_waitcnt vmcnt(1)
	v_cmp_neq_f32_e64 vcc, |v5|, s0
	v_cndmask_b32_e32 v5, v7, v5, vcc
	v_max_f32_e32 v10, v5, v5
	s_waitcnt vmcnt(0)
	v_cmp_neq_f32_e64 vcc, |v6|, s0
	v_cndmask_b32_e32 v7, v7, v6, vcc
	v_max_f32_e32 v6, v7, v7
	v_max_f32_e32 v6, v10, v6
	v_sub_f32_e32 v5, v5, v6
	v_sub_f32_e32 v7, v7, v6
	v_mul_f32_e32 v10, 0x3fb8aa3b, v5
	v_mul_f32_e32 v11, 0x3fb8aa3b, v7
	v_fma_f32 v12, v5, s1, -v10
	v_rndne_f32_e32 v13, v10
	v_fma_f32 v14, v7, s1, -v11
	v_rndne_f32_e32 v15, v11
	v_fmac_f32_e32 v12, 0x32a5705f, v5
	v_sub_f32_e32 v10, v10, v13
	v_fmac_f32_e32 v14, 0x32a5705f, v7
	v_sub_f32_e32 v11, v11, v15
	v_add_f32_e32 v10, v10, v12
	v_cvt_i32_f32_e32 v13, v13
	v_add_f32_e32 v11, v11, v14
	v_exp_f32_e32 v10, v10
	v_cvt_i32_f32_e32 v15, v15
	v_exp_f32_e32 v11, v11
	v_cmp_ngt_f32_e32 vcc, s6, v5
	v_ldexp_f32 v8, v10, v13
	v_cndmask_b32_e32 v8, 0, v8, vcc
	v_ldexp_f32 v10, v11, v15
	v_cmp_ngt_f32_e32 vcc, s6, v7
	v_cndmask_b32_e32 v10, 0, v10, vcc
	v_cmp_nlt_f32_e32 vcc, s7, v5
	v_cndmask_b32_e32 v8, v9, v8, vcc
	v_cmp_nlt_f32_e32 vcc, s7, v7
	v_lshlrev_b32_e32 v12, 2, v4
	v_cndmask_b32_e32 v9, v9, v10, vcc
	v_add_f32_e32 v7, v8, v9
	v_cmp_gt_u32_e32 vcc, s2, v12
	s_and_saveexec_b64 s[6:7], vcc
	s_cbranch_execz .LBB1_3
; %bb.2:
	s_load_dwordx2 s[0:1], s[4:5], 0x10
	s_load_dwordx4 s[12:15], s[4:5], 0x0
	v_mul_lo_u32 v2, v2, s2
	v_lshlrev_b64 v[18:19], 2, v[2:3]
	v_mov_b32_e32 v5, v3
	s_waitcnt lgkmcnt(0)
	v_mov_b32_e32 v2, s1
	v_add_co_u32_e32 v10, vcc, s0, v18
	v_addc_co_u32_e32 v11, vcc, v2, v19, vcc
	v_mov_b32_e32 v2, s15
	v_add_co_u32_e32 v14, vcc, s14, v18
	v_addc_co_u32_e32 v15, vcc, v2, v19, vcc
	v_lshlrev_b64 v[2:3], 4, v[4:5]
	v_add_co_u32_e32 v10, vcc, v10, v2
	v_addc_co_u32_e32 v11, vcc, v11, v3, vcc
	v_add_co_u32_e32 v14, vcc, v14, v2
	global_load_dwordx4 v[10:13], v[10:11], off
	v_addc_co_u32_e32 v15, vcc, v15, v3, vcc
	global_load_dwordx4 v[14:17], v[14:15], off
	v_div_scale_f32 v5, s[0:1], v7, v7, v9
	v_div_scale_f32 v21, s[0:1], v7, v7, v8
	v_rcp_f32_e32 v22, v5
	v_rcp_f32_e32 v23, v21
	v_div_scale_f32 v20, vcc, v9, v7, v9
	v_fma_f32 v25, -v5, v22, 1.0
	v_fma_f32 v26, -v21, v23, 1.0
	v_mov_b32_e32 v27, s13
	v_fmac_f32_e32 v22, v25, v22
	v_add_co_u32_e64 v18, s[2:3], s12, v18
	v_div_scale_f32 v24, s[0:1], v8, v7, v8
	v_fmac_f32_e32 v23, v26, v23
	v_addc_co_u32_e64 v19, s[2:3], v27, v19, s[2:3]
	v_mul_f32_e32 v25, v20, v22
	v_mul_f32_e32 v26, v24, v23
	v_add_co_u32_e64 v2, s[2:3], v18, v2
	v_fma_f32 v18, -v5, v25, v20
	v_addc_co_u32_e64 v3, s[2:3], v19, v3, s[2:3]
	v_fma_f32 v19, -v21, v26, v24
	v_fmac_f32_e32 v25, v18, v22
	v_fmac_f32_e32 v26, v19, v23
	v_fma_f32 v5, -v5, v25, v20
	v_fma_f32 v19, -v21, v26, v24
	v_div_fmas_f32 v5, v5, v22, v25
	s_mov_b64 vcc, s[0:1]
	v_div_fixup_f32 v18, v5, v7, v9
	v_div_fmas_f32 v5, v19, v23, v26
	v_div_fixup_f32 v20, v5, v7, v8
	s_waitcnt vmcnt(1)
	v_pk_mul_f32 v[8:9], v[18:19], v[10:11] op_sel_hi:[0,1]
	v_pk_mul_f32 v[10:11], v[18:19], v[12:13] op_sel_hi:[0,1]
	s_waitcnt vmcnt(0)
	v_pk_fma_f32 v[8:9], v[20:21], v[14:15], v[8:9] op_sel_hi:[0,1,1]
	v_pk_fma_f32 v[10:11], v[20:21], v[16:17], v[10:11] op_sel_hi:[0,1,1]
	global_store_dwordx4 v[2:3], v[8:11], off
.LBB1_3:
	s_or_b64 exec, exec, s[6:7]
	s_cmp_lg_u64 s[8:9], 0
	s_cselect_b64 s[0:1], -1, 0
	v_cmp_eq_u32_e32 vcc, 0, v4
	s_and_b64 s[0:1], s[0:1], vcc
	s_and_b64 exec, exec, s[0:1]
	s_cbranch_execz .LBB1_5
; %bb.4:
	s_mov_b32 s0, 0x800000
	v_mov_b32_e32 v3, 0x4f800000
	v_cmp_gt_f32_e32 vcc, s0, v7
	v_cndmask_b32_e32 v3, 1.0, v3, vcc
	v_mul_f32_e32 v3, v7, v3
	v_log_f32_e32 v3, v3
	v_mov_b32_e32 v2, s9
	v_add_co_u32_e64 v0, s[0:1], s8, v0
	v_addc_co_u32_e64 v1, s[0:1], v2, v1, s[0:1]
	s_mov_b32 s0, 0x3f317217
	v_mul_f32_e32 v2, 0x3f317217, v3
	v_fma_f32 v4, v3, s0, -v2
	v_fmac_f32_e32 v4, 0x3377d1cf, v3
	s_mov_b32 s0, 0x7f800000
	v_add_f32_e32 v2, v2, v4
	v_cmp_lt_f32_e64 s[0:1], |v3|, s0
	v_cndmask_b32_e64 v2, v3, v2, s[0:1]
	v_mov_b32_e32 v3, 0x41b17218
	v_cndmask_b32_e32 v3, 0, v3, vcc
	v_sub_f32_e32 v2, v2, v3
	v_add_f32_e32 v2, v6, v2
	global_store_dword v[0:1], v2, off
.LBB1_5:
	s_endpgm
	.section	.rodata,"a",@progbits
	.p2align	6, 0x0
	.amdhsa_kernel _Z24merge_attn_states_kernelIfLj128EEvPT_PKS0_S3_PfPKfS6_jjj
		.amdhsa_group_segment_fixed_size 0
		.amdhsa_private_segment_fixed_size 0
		.amdhsa_kernarg_size 60
		.amdhsa_user_sgpr_count 6
		.amdhsa_user_sgpr_private_segment_buffer 1
		.amdhsa_user_sgpr_dispatch_ptr 0
		.amdhsa_user_sgpr_queue_ptr 0
		.amdhsa_user_sgpr_kernarg_segment_ptr 1
		.amdhsa_user_sgpr_dispatch_id 0
		.amdhsa_user_sgpr_flat_scratch_init 0
		.amdhsa_user_sgpr_kernarg_preload_length 0
		.amdhsa_user_sgpr_kernarg_preload_offset 0
		.amdhsa_user_sgpr_private_segment_size 0
		.amdhsa_uses_dynamic_stack 0
		.amdhsa_system_sgpr_private_segment_wavefront_offset 0
		.amdhsa_system_sgpr_workgroup_id_x 1
		.amdhsa_system_sgpr_workgroup_id_y 0
		.amdhsa_system_sgpr_workgroup_id_z 0
		.amdhsa_system_sgpr_workgroup_info 0
		.amdhsa_system_vgpr_workitem_id 0
		.amdhsa_next_free_vgpr 28
		.amdhsa_next_free_sgpr 16
		.amdhsa_accum_offset 28
		.amdhsa_reserve_vcc 1
		.amdhsa_reserve_flat_scratch 0
		.amdhsa_float_round_mode_32 0
		.amdhsa_float_round_mode_16_64 0
		.amdhsa_float_denorm_mode_32 3
		.amdhsa_float_denorm_mode_16_64 3
		.amdhsa_dx10_clamp 1
		.amdhsa_ieee_mode 1
		.amdhsa_fp16_overflow 0
		.amdhsa_tg_split 0
		.amdhsa_exception_fp_ieee_invalid_op 0
		.amdhsa_exception_fp_denorm_src 0
		.amdhsa_exception_fp_ieee_div_zero 0
		.amdhsa_exception_fp_ieee_overflow 0
		.amdhsa_exception_fp_ieee_underflow 0
		.amdhsa_exception_fp_ieee_inexact 0
		.amdhsa_exception_int_div_zero 0
	.end_amdhsa_kernel
	.section	.text._Z24merge_attn_states_kernelIfLj128EEvPT_PKS0_S3_PfPKfS6_jjj,"axG",@progbits,_Z24merge_attn_states_kernelIfLj128EEvPT_PKS0_S3_PfPKfS6_jjj,comdat
.Lfunc_end1:
	.size	_Z24merge_attn_states_kernelIfLj128EEvPT_PKS0_S3_PfPKfS6_jjj, .Lfunc_end1-_Z24merge_attn_states_kernelIfLj128EEvPT_PKS0_S3_PfPKfS6_jjj
                                        ; -- End function
	.section	.AMDGPU.csdata,"",@progbits
; Kernel info:
; codeLenInByte = 988
; NumSgprs: 20
; NumVgprs: 28
; NumAgprs: 0
; TotalNumVgprs: 28
; ScratchSize: 0
; MemoryBound: 0
; FloatMode: 240
; IeeeMode: 1
; LDSByteSize: 0 bytes/workgroup (compile time only)
; SGPRBlocks: 2
; VGPRBlocks: 3
; NumSGPRsForWavesPerEU: 20
; NumVGPRsForWavesPerEU: 28
; AccumOffset: 28
; Occupancy: 8
; WaveLimiterHint : 0
; COMPUTE_PGM_RSRC2:SCRATCH_EN: 0
; COMPUTE_PGM_RSRC2:USER_SGPR: 6
; COMPUTE_PGM_RSRC2:TRAP_HANDLER: 0
; COMPUTE_PGM_RSRC2:TGID_X_EN: 1
; COMPUTE_PGM_RSRC2:TGID_Y_EN: 0
; COMPUTE_PGM_RSRC2:TGID_Z_EN: 0
; COMPUTE_PGM_RSRC2:TIDIG_COMP_CNT: 0
; COMPUTE_PGM_RSRC3_GFX90A:ACCUM_OFFSET: 6
; COMPUTE_PGM_RSRC3_GFX90A:TG_SPLIT: 0
	.section	.text._Z19uniform_fill_kernelI6__halfEvPT_mffj,"axG",@progbits,_Z19uniform_fill_kernelI6__halfEvPT_mffj,comdat
	.protected	_Z19uniform_fill_kernelI6__halfEvPT_mffj ; -- Begin function _Z19uniform_fill_kernelI6__halfEvPT_mffj
	.globl	_Z19uniform_fill_kernelI6__halfEvPT_mffj
	.p2align	8
	.type	_Z19uniform_fill_kernelI6__halfEvPT_mffj,@function
_Z19uniform_fill_kernelI6__halfEvPT_mffj: ; @_Z19uniform_fill_kernelI6__halfEvPT_mffj
; %bb.0:
	s_load_dword s7, s[4:5], 0x2c
	s_load_dwordx4 s[0:3], s[4:5], 0x0
	v_mov_b32_e32 v1, 0
	v_mov_b32_e32 v2, s6
	s_waitcnt lgkmcnt(0)
	s_and_b32 s7, s7, 0xffff
	v_mad_u64_u32 v[0:1], s[6:7], s7, v2, v[0:1]
	v_cmp_gt_u64_e32 vcc, s[2:3], v[0:1]
	s_and_saveexec_b64 s[2:3], vcc
	s_cbranch_execz .LBB2_2
; %bb.1:
	s_load_dwordx4 s[4:7], s[4:5], 0x10
	v_lshlrev_b64 v[2:3], 1, v[0:1]
	s_waitcnt lgkmcnt(0)
	v_xor_b32_e32 v0, s6, v0
	v_lshlrev_b32_e32 v1, 13, v0
	v_xor_b32_e32 v0, v1, v0
	v_lshrrev_b32_e32 v1, 17, v0
	v_xor_b32_e32 v0, v1, v0
	v_lshlrev_b32_e32 v1, 5, v0
	v_xor_b32_e32 v0, v1, v0
	v_lshrrev_b32_e32 v0, 8, v0
	v_cvt_f32_u32_e32 v0, v0
	v_mov_b32_e32 v4, s4
	v_sub_f32_e32 v4, s5, v4
	v_mov_b32_e32 v1, s1
	v_mul_f32_e32 v0, 0x33800000, v0
	v_fma_mixlo_f16 v4, v4, v0, s4
	v_add_co_u32_e32 v0, vcc, s0, v2
	v_addc_co_u32_e32 v1, vcc, v1, v3, vcc
	global_store_short v[0:1], v4, off
.LBB2_2:
	s_endpgm
	.section	.rodata,"a",@progbits
	.p2align	6, 0x0
	.amdhsa_kernel _Z19uniform_fill_kernelI6__halfEvPT_mffj
		.amdhsa_group_segment_fixed_size 0
		.amdhsa_private_segment_fixed_size 0
		.amdhsa_kernarg_size 288
		.amdhsa_user_sgpr_count 6
		.amdhsa_user_sgpr_private_segment_buffer 1
		.amdhsa_user_sgpr_dispatch_ptr 0
		.amdhsa_user_sgpr_queue_ptr 0
		.amdhsa_user_sgpr_kernarg_segment_ptr 1
		.amdhsa_user_sgpr_dispatch_id 0
		.amdhsa_user_sgpr_flat_scratch_init 0
		.amdhsa_user_sgpr_kernarg_preload_length 0
		.amdhsa_user_sgpr_kernarg_preload_offset 0
		.amdhsa_user_sgpr_private_segment_size 0
		.amdhsa_uses_dynamic_stack 0
		.amdhsa_system_sgpr_private_segment_wavefront_offset 0
		.amdhsa_system_sgpr_workgroup_id_x 1
		.amdhsa_system_sgpr_workgroup_id_y 0
		.amdhsa_system_sgpr_workgroup_id_z 0
		.amdhsa_system_sgpr_workgroup_info 0
		.amdhsa_system_vgpr_workitem_id 0
		.amdhsa_next_free_vgpr 5
		.amdhsa_next_free_sgpr 8
		.amdhsa_accum_offset 8
		.amdhsa_reserve_vcc 1
		.amdhsa_reserve_flat_scratch 0
		.amdhsa_float_round_mode_32 0
		.amdhsa_float_round_mode_16_64 0
		.amdhsa_float_denorm_mode_32 3
		.amdhsa_float_denorm_mode_16_64 3
		.amdhsa_dx10_clamp 1
		.amdhsa_ieee_mode 1
		.amdhsa_fp16_overflow 0
		.amdhsa_tg_split 0
		.amdhsa_exception_fp_ieee_invalid_op 0
		.amdhsa_exception_fp_denorm_src 0
		.amdhsa_exception_fp_ieee_div_zero 0
		.amdhsa_exception_fp_ieee_overflow 0
		.amdhsa_exception_fp_ieee_underflow 0
		.amdhsa_exception_fp_ieee_inexact 0
		.amdhsa_exception_int_div_zero 0
	.end_amdhsa_kernel
	.section	.text._Z19uniform_fill_kernelI6__halfEvPT_mffj,"axG",@progbits,_Z19uniform_fill_kernelI6__halfEvPT_mffj,comdat
.Lfunc_end2:
	.size	_Z19uniform_fill_kernelI6__halfEvPT_mffj, .Lfunc_end2-_Z19uniform_fill_kernelI6__halfEvPT_mffj
                                        ; -- End function
	.section	.AMDGPU.csdata,"",@progbits
; Kernel info:
; codeLenInByte = 160
; NumSgprs: 12
; NumVgprs: 5
; NumAgprs: 0
; TotalNumVgprs: 5
; ScratchSize: 0
; MemoryBound: 0
; FloatMode: 240
; IeeeMode: 1
; LDSByteSize: 0 bytes/workgroup (compile time only)
; SGPRBlocks: 1
; VGPRBlocks: 0
; NumSGPRsForWavesPerEU: 12
; NumVGPRsForWavesPerEU: 5
; AccumOffset: 8
; Occupancy: 8
; WaveLimiterHint : 0
; COMPUTE_PGM_RSRC2:SCRATCH_EN: 0
; COMPUTE_PGM_RSRC2:USER_SGPR: 6
; COMPUTE_PGM_RSRC2:TRAP_HANDLER: 0
; COMPUTE_PGM_RSRC2:TGID_X_EN: 1
; COMPUTE_PGM_RSRC2:TGID_Y_EN: 0
; COMPUTE_PGM_RSRC2:TGID_Z_EN: 0
; COMPUTE_PGM_RSRC2:TIDIG_COMP_CNT: 0
; COMPUTE_PGM_RSRC3_GFX90A:ACCUM_OFFSET: 1
; COMPUTE_PGM_RSRC3_GFX90A:TG_SPLIT: 0
	.section	.text._Z24merge_attn_states_kernelI6__halfLj128EEvPT_PKS1_S4_PfPKfS7_jjj,"axG",@progbits,_Z24merge_attn_states_kernelI6__halfLj128EEvPT_PKS1_S4_PfPKfS7_jjj,comdat
	.protected	_Z24merge_attn_states_kernelI6__halfLj128EEvPT_PKS1_S4_PfPKfS7_jjj ; -- Begin function _Z24merge_attn_states_kernelI6__halfLj128EEvPT_PKS1_S4_PfPKfS7_jjj
	.globl	_Z24merge_attn_states_kernelI6__halfLj128EEvPT_PKS1_S4_PfPKfS7_jjj
	.p2align	8
	.type	_Z24merge_attn_states_kernelI6__halfLj128EEvPT_PKS1_S4_PfPKfS7_jjj,@function
_Z24merge_attn_states_kernelI6__halfLj128EEvPT_PKS1_S4_PfPKfS7_jjj: ; @_Z24merge_attn_states_kernelI6__halfLj128EEvPT_PKS1_S4_PfPKfS7_jjj
; %bb.0:
	s_load_dwordx4 s[0:3], s[4:5], 0x30
	v_lshl_add_u32 v2, s6, 7, v0
	s_waitcnt lgkmcnt(0)
	s_lshr_b32 s3, s2, 3
	s_mul_i32 s0, s1, s0
	s_mul_i32 s0, s0, s3
	v_cmp_gt_u32_e32 vcc, s0, v2
	s_and_saveexec_b64 s[0:1], vcc
	s_cbranch_execz .LBB3_5
; %bb.1:
	v_cvt_f32_u32_e32 v0, s3
	s_sub_i32 s6, 0, s3
	s_load_dwordx4 s[8:11], s[4:5], 0x18
	s_load_dwordx2 s[0:1], s[4:5], 0x28
	v_mov_b32_e32 v5, 0
	v_rcp_iflag_f32_e32 v0, v0
	s_mov_b32 s7, 0x42b17218
	v_mov_b32_e32 v9, 0x7f800000
	v_mul_f32_e32 v0, 0x4f7ffffe, v0
	v_cvt_u32_f32_e32 v0, v0
	v_mul_lo_u32 v1, s6, v0
	v_mul_hi_u32 v1, v0, v1
	v_add_u32_e32 v0, v0, v1
	v_mul_hi_u32 v0, v2, v0
	v_mul_lo_u32 v1, v0, s3
	v_sub_u32_e32 v1, v2, v1
	v_add_u32_e32 v3, 1, v0
	v_cmp_le_u32_e32 vcc, s3, v1
	v_cndmask_b32_e32 v0, v0, v3, vcc
	v_subrev_u32_e32 v3, s3, v1
	v_cndmask_b32_e32 v1, v1, v3, vcc
	v_add_u32_e32 v3, 1, v0
	v_cmp_le_u32_e32 vcc, s3, v1
	v_cndmask_b32_e32 v4, v0, v3, vcc
	v_lshlrev_b64 v[0:1], 2, v[4:5]
	s_waitcnt lgkmcnt(0)
	v_mov_b32_e32 v3, s11
	v_add_co_u32_e32 v6, vcc, s10, v0
	v_addc_co_u32_e32 v7, vcc, v3, v1, vcc
	global_load_dword v3, v[6:7], off
	v_mov_b32_e32 v7, s1
	v_add_co_u32_e32 v6, vcc, s0, v0
	v_addc_co_u32_e32 v7, vcc, v7, v1, vcc
	global_load_dword v6, v[6:7], off
	s_mov_b32 s0, 0x7f800000
	v_mov_b32_e32 v7, 0xff800000
	s_mov_b32 s1, 0x3fb8aa3b
	s_mov_b32 s6, 0xc2ce8ed0
	v_mul_lo_u32 v8, v4, s3
	v_sub_u32_e32 v2, v2, v8
	s_waitcnt vmcnt(1)
	v_cmp_neq_f32_e64 vcc, |v3|, s0
	v_cndmask_b32_e32 v3, v7, v3, vcc
	v_max_f32_e32 v10, v3, v3
	s_waitcnt vmcnt(0)
	v_cmp_neq_f32_e64 vcc, |v6|, s0
	v_cndmask_b32_e32 v7, v7, v6, vcc
	v_max_f32_e32 v6, v7, v7
	v_max_f32_e32 v6, v10, v6
	v_sub_f32_e32 v3, v3, v6
	v_sub_f32_e32 v7, v7, v6
	v_mul_f32_e32 v10, 0x3fb8aa3b, v3
	v_mul_f32_e32 v11, 0x3fb8aa3b, v7
	v_fma_f32 v12, v3, s1, -v10
	v_rndne_f32_e32 v13, v10
	v_fma_f32 v14, v7, s1, -v11
	v_rndne_f32_e32 v15, v11
	v_fmac_f32_e32 v12, 0x32a5705f, v3
	v_sub_f32_e32 v10, v10, v13
	v_fmac_f32_e32 v14, 0x32a5705f, v7
	v_sub_f32_e32 v11, v11, v15
	v_add_f32_e32 v10, v10, v12
	v_cvt_i32_f32_e32 v13, v13
	v_add_f32_e32 v11, v11, v14
	v_exp_f32_e32 v10, v10
	v_cvt_i32_f32_e32 v15, v15
	v_exp_f32_e32 v11, v11
	v_cmp_ngt_f32_e32 vcc, s6, v3
	v_ldexp_f32 v8, v10, v13
	v_cndmask_b32_e32 v8, 0, v8, vcc
	v_ldexp_f32 v10, v11, v15
	v_cmp_ngt_f32_e32 vcc, s6, v7
	v_cndmask_b32_e32 v10, 0, v10, vcc
	v_cmp_nlt_f32_e32 vcc, s7, v3
	v_cndmask_b32_e32 v8, v9, v8, vcc
	v_cmp_nlt_f32_e32 vcc, s7, v7
	v_lshlrev_b32_e32 v12, 3, v2
	v_cndmask_b32_e32 v9, v9, v10, vcc
	v_add_f32_e32 v7, v8, v9
	v_cmp_gt_u32_e32 vcc, s2, v12
	s_and_saveexec_b64 s[6:7], vcc
	s_cbranch_execz .LBB3_3
; %bb.2:
	s_load_dwordx2 s[0:1], s[4:5], 0x10
	s_load_dwordx4 s[12:15], s[4:5], 0x0
	v_mul_lo_u32 v4, v4, s2
	v_lshlrev_b64 v[18:19], 1, v[4:5]
	s_waitcnt lgkmcnt(0)
	v_mov_b32_e32 v3, s1
	v_add_co_u32_e32 v10, vcc, s0, v18
	v_addc_co_u32_e32 v11, vcc, v3, v19, vcc
	v_mov_b32_e32 v3, v5
	v_lshlrev_b64 v[4:5], 4, v[2:3]
	v_add_co_u32_e32 v10, vcc, v10, v4
	v_addc_co_u32_e32 v11, vcc, v11, v5, vcc
	global_load_dwordx4 v[10:13], v[10:11], off
	v_mov_b32_e32 v3, s15
	v_add_co_u32_e32 v14, vcc, s14, v18
	v_addc_co_u32_e32 v3, vcc, v3, v19, vcc
	v_add_co_u32_e32 v14, vcc, v14, v4
	v_addc_co_u32_e32 v15, vcc, v3, v5, vcc
	global_load_dwordx4 v[14:17], v[14:15], off
	v_div_scale_f32 v3, s[0:1], v7, v7, v9
	v_div_scale_f32 v21, s[0:1], v7, v7, v8
	v_rcp_f32_e32 v22, v3
	v_rcp_f32_e32 v23, v21
	v_div_scale_f32 v20, vcc, v9, v7, v9
	v_fma_f32 v25, -v3, v22, 1.0
	v_fma_f32 v26, -v21, v23, 1.0
	v_mov_b32_e32 v27, s13
	v_fmac_f32_e32 v22, v25, v22
	v_add_co_u32_e64 v18, s[2:3], s12, v18
	v_div_scale_f32 v24, s[0:1], v8, v7, v8
	v_fmac_f32_e32 v23, v26, v23
	v_addc_co_u32_e64 v19, s[2:3], v27, v19, s[2:3]
	v_mul_f32_e32 v25, v20, v22
	v_mul_f32_e32 v26, v24, v23
	v_add_co_u32_e64 v4, s[2:3], v18, v4
	v_fma_f32 v18, -v3, v25, v20
	v_addc_co_u32_e64 v5, s[2:3], v19, v5, s[2:3]
	v_fma_f32 v19, -v21, v26, v24
	v_fmac_f32_e32 v25, v18, v22
	v_fmac_f32_e32 v26, v19, v23
	v_fma_f32 v3, -v3, v25, v20
	v_fma_f32 v18, -v21, v26, v24
	v_div_fmas_f32 v3, v3, v22, v25
	s_mov_b64 vcc, s[0:1]
	v_div_fixup_f32 v3, v3, v7, v9
	v_div_fmas_f32 v9, v18, v23, v26
	v_div_fixup_f32 v18, v9, v7, v8
	s_waitcnt vmcnt(1)
	v_cvt_f32_f16_e32 v8, v10
	v_cvt_f32_f16_sdwa v9, v10 dst_sel:DWORD dst_unused:UNUSED_PAD src0_sel:WORD_1
	v_cvt_f32_f16_e32 v10, v11
	v_cvt_f32_f16_sdwa v11, v11 dst_sel:DWORD dst_unused:UNUSED_PAD src0_sel:WORD_1
	v_cvt_f32_f16_e32 v19, v12
	v_cvt_f32_f16_e32 v20, v13
	v_cvt_f32_f16_sdwa v12, v12 dst_sel:DWORD dst_unused:UNUSED_PAD src0_sel:WORD_1
	v_cvt_f32_f16_sdwa v13, v13 dst_sel:DWORD dst_unused:UNUSED_PAD src0_sel:WORD_1
	v_mul_f32_e32 v8, v3, v8
	v_mul_f32_e32 v21, v3, v9
	;; [unrolled: 1-line block ×8, first 2 shown]
	s_waitcnt vmcnt(0)
	v_fma_mixlo_f16 v8, v18, v14, v8 op_sel_hi:[0,1,0]
	v_fma_mixlo_f16 v9, v18, v15, v9 op_sel_hi:[0,1,0]
	;; [unrolled: 1-line block ×4, first 2 shown]
	v_fma_mixhi_f16 v11, v18, v17, v3 op_sel:[0,1,0] op_sel_hi:[0,1,0]
	v_fma_mixhi_f16 v10, v18, v16, v12 op_sel:[0,1,0] op_sel_hi:[0,1,0]
	;; [unrolled: 1-line block ×4, first 2 shown]
	global_store_dwordx4 v[4:5], v[8:11], off
.LBB3_3:
	s_or_b64 exec, exec, s[6:7]
	s_cmp_lg_u64 s[8:9], 0
	s_cselect_b64 s[0:1], -1, 0
	v_cmp_eq_u32_e32 vcc, 0, v2
	s_and_b64 s[0:1], s[0:1], vcc
	s_and_b64 exec, exec, s[0:1]
	s_cbranch_execz .LBB3_5
; %bb.4:
	s_mov_b32 s0, 0x800000
	v_mov_b32_e32 v3, 0x4f800000
	v_cmp_gt_f32_e32 vcc, s0, v7
	v_cndmask_b32_e32 v3, 1.0, v3, vcc
	v_mul_f32_e32 v3, v7, v3
	v_log_f32_e32 v3, v3
	v_mov_b32_e32 v2, s9
	v_add_co_u32_e64 v0, s[0:1], s8, v0
	v_addc_co_u32_e64 v1, s[0:1], v2, v1, s[0:1]
	s_mov_b32 s0, 0x3f317217
	v_mul_f32_e32 v2, 0x3f317217, v3
	v_fma_f32 v4, v3, s0, -v2
	v_fmac_f32_e32 v4, 0x3377d1cf, v3
	s_mov_b32 s0, 0x7f800000
	v_add_f32_e32 v2, v2, v4
	v_cmp_lt_f32_e64 s[0:1], |v3|, s0
	v_cndmask_b32_e64 v2, v3, v2, s[0:1]
	v_mov_b32_e32 v3, 0x41b17218
	v_cndmask_b32_e32 v3, 0, v3, vcc
	v_sub_f32_e32 v2, v2, v3
	v_add_f32_e32 v2, v6, v2
	global_store_dword v[0:1], v2, off
.LBB3_5:
	s_endpgm
	.section	.rodata,"a",@progbits
	.p2align	6, 0x0
	.amdhsa_kernel _Z24merge_attn_states_kernelI6__halfLj128EEvPT_PKS1_S4_PfPKfS7_jjj
		.amdhsa_group_segment_fixed_size 0
		.amdhsa_private_segment_fixed_size 0
		.amdhsa_kernarg_size 60
		.amdhsa_user_sgpr_count 6
		.amdhsa_user_sgpr_private_segment_buffer 1
		.amdhsa_user_sgpr_dispatch_ptr 0
		.amdhsa_user_sgpr_queue_ptr 0
		.amdhsa_user_sgpr_kernarg_segment_ptr 1
		.amdhsa_user_sgpr_dispatch_id 0
		.amdhsa_user_sgpr_flat_scratch_init 0
		.amdhsa_user_sgpr_kernarg_preload_length 0
		.amdhsa_user_sgpr_kernarg_preload_offset 0
		.amdhsa_user_sgpr_private_segment_size 0
		.amdhsa_uses_dynamic_stack 0
		.amdhsa_system_sgpr_private_segment_wavefront_offset 0
		.amdhsa_system_sgpr_workgroup_id_x 1
		.amdhsa_system_sgpr_workgroup_id_y 0
		.amdhsa_system_sgpr_workgroup_id_z 0
		.amdhsa_system_sgpr_workgroup_info 0
		.amdhsa_system_vgpr_workitem_id 0
		.amdhsa_next_free_vgpr 28
		.amdhsa_next_free_sgpr 16
		.amdhsa_accum_offset 28
		.amdhsa_reserve_vcc 1
		.amdhsa_reserve_flat_scratch 0
		.amdhsa_float_round_mode_32 0
		.amdhsa_float_round_mode_16_64 0
		.amdhsa_float_denorm_mode_32 3
		.amdhsa_float_denorm_mode_16_64 3
		.amdhsa_dx10_clamp 1
		.amdhsa_ieee_mode 1
		.amdhsa_fp16_overflow 0
		.amdhsa_tg_split 0
		.amdhsa_exception_fp_ieee_invalid_op 0
		.amdhsa_exception_fp_denorm_src 0
		.amdhsa_exception_fp_ieee_div_zero 0
		.amdhsa_exception_fp_ieee_overflow 0
		.amdhsa_exception_fp_ieee_underflow 0
		.amdhsa_exception_fp_ieee_inexact 0
		.amdhsa_exception_int_div_zero 0
	.end_amdhsa_kernel
	.section	.text._Z24merge_attn_states_kernelI6__halfLj128EEvPT_PKS1_S4_PfPKfS7_jjj,"axG",@progbits,_Z24merge_attn_states_kernelI6__halfLj128EEvPT_PKS1_S4_PfPKfS7_jjj,comdat
.Lfunc_end3:
	.size	_Z24merge_attn_states_kernelI6__halfLj128EEvPT_PKS1_S4_PfPKfS7_jjj, .Lfunc_end3-_Z24merge_attn_states_kernelI6__halfLj128EEvPT_PKS1_S4_PfPKfS7_jjj
                                        ; -- End function
	.section	.AMDGPU.csdata,"",@progbits
; Kernel info:
; codeLenInByte = 1100
; NumSgprs: 20
; NumVgprs: 28
; NumAgprs: 0
; TotalNumVgprs: 28
; ScratchSize: 0
; MemoryBound: 0
; FloatMode: 240
; IeeeMode: 1
; LDSByteSize: 0 bytes/workgroup (compile time only)
; SGPRBlocks: 2
; VGPRBlocks: 3
; NumSGPRsForWavesPerEU: 20
; NumVGPRsForWavesPerEU: 28
; AccumOffset: 28
; Occupancy: 8
; WaveLimiterHint : 0
; COMPUTE_PGM_RSRC2:SCRATCH_EN: 0
; COMPUTE_PGM_RSRC2:USER_SGPR: 6
; COMPUTE_PGM_RSRC2:TRAP_HANDLER: 0
; COMPUTE_PGM_RSRC2:TGID_X_EN: 1
; COMPUTE_PGM_RSRC2:TGID_Y_EN: 0
; COMPUTE_PGM_RSRC2:TGID_Z_EN: 0
; COMPUTE_PGM_RSRC2:TIDIG_COMP_CNT: 0
; COMPUTE_PGM_RSRC3_GFX90A:ACCUM_OFFSET: 6
; COMPUTE_PGM_RSRC3_GFX90A:TG_SPLIT: 0
	.section	.text._Z19uniform_fill_kernelI14__hip_bfloat16EvPT_mffj,"axG",@progbits,_Z19uniform_fill_kernelI14__hip_bfloat16EvPT_mffj,comdat
	.protected	_Z19uniform_fill_kernelI14__hip_bfloat16EvPT_mffj ; -- Begin function _Z19uniform_fill_kernelI14__hip_bfloat16EvPT_mffj
	.globl	_Z19uniform_fill_kernelI14__hip_bfloat16EvPT_mffj
	.p2align	8
	.type	_Z19uniform_fill_kernelI14__hip_bfloat16EvPT_mffj,@function
_Z19uniform_fill_kernelI14__hip_bfloat16EvPT_mffj: ; @_Z19uniform_fill_kernelI14__hip_bfloat16EvPT_mffj
; %bb.0:
	s_load_dword s7, s[4:5], 0x2c
	s_load_dwordx4 s[0:3], s[4:5], 0x0
	v_mov_b32_e32 v1, 0
	v_mov_b32_e32 v2, s6
	s_waitcnt lgkmcnt(0)
	s_and_b32 s7, s7, 0xffff
	v_mad_u64_u32 v[0:1], s[6:7], s7, v2, v[0:1]
	v_cmp_gt_u64_e32 vcc, s[2:3], v[0:1]
	s_and_saveexec_b64 s[2:3], vcc
	s_cbranch_execz .LBB4_6
; %bb.1:
	s_load_dwordx4 s[4:7], s[4:5], 0x10
	s_mov_b32 s2, 0x7f800000
	s_waitcnt lgkmcnt(0)
	v_xor_b32_e32 v2, s6, v0
	v_lshlrev_b32_e32 v3, 13, v2
	v_xor_b32_e32 v2, v3, v2
	v_lshrrev_b32_e32 v3, 17, v2
	v_xor_b32_e32 v2, v3, v2
	v_lshlrev_b32_e32 v3, 5, v2
	v_xor_b32_e32 v2, v3, v2
	v_lshrrev_b32_e32 v2, 8, v2
	v_cvt_f32_u32_e32 v2, v2
	v_mov_b32_e32 v3, s4
	v_sub_f32_e32 v3, s5, v3
	v_mul_f32_e32 v2, 0x33800000, v2
	v_fma_f32 v3, v3, v2, s4
	v_and_b32_e32 v2, 0x7f800000, v3
	v_cmp_ne_u32_e32 vcc, s2, v2
                                        ; implicit-def: $vgpr2
	s_and_saveexec_b64 s[2:3], vcc
	s_xor_b64 s[2:3], exec, s[2:3]
; %bb.2:
	v_bfe_u32 v2, v3, 16, 1
	s_movk_i32 s4, 0x7fff
	v_add3_u32 v2, v3, v2, s4
                                        ; implicit-def: $vgpr3
; %bb.3:
	s_andn2_saveexec_b64 s[2:3], s[2:3]
; %bb.4:
	v_mov_b32_e32 v2, 0
	v_or_b32_e32 v4, 0x10000, v3
	v_cmp_eq_u32_sdwa vcc, v3, v2 src0_sel:WORD_0 src1_sel:DWORD
	v_cndmask_b32_e32 v2, v4, v3, vcc
; %bb.5:
	s_or_b64 exec, exec, s[2:3]
	v_lshlrev_b64 v[0:1], 1, v[0:1]
	v_mov_b32_e32 v3, s1
	v_add_co_u32_e32 v0, vcc, s0, v0
	v_addc_co_u32_e32 v1, vcc, v3, v1, vcc
	global_store_short_d16_hi v[0:1], v2, off
.LBB4_6:
	s_endpgm
	.section	.rodata,"a",@progbits
	.p2align	6, 0x0
	.amdhsa_kernel _Z19uniform_fill_kernelI14__hip_bfloat16EvPT_mffj
		.amdhsa_group_segment_fixed_size 0
		.amdhsa_private_segment_fixed_size 0
		.amdhsa_kernarg_size 288
		.amdhsa_user_sgpr_count 6
		.amdhsa_user_sgpr_private_segment_buffer 1
		.amdhsa_user_sgpr_dispatch_ptr 0
		.amdhsa_user_sgpr_queue_ptr 0
		.amdhsa_user_sgpr_kernarg_segment_ptr 1
		.amdhsa_user_sgpr_dispatch_id 0
		.amdhsa_user_sgpr_flat_scratch_init 0
		.amdhsa_user_sgpr_kernarg_preload_length 0
		.amdhsa_user_sgpr_kernarg_preload_offset 0
		.amdhsa_user_sgpr_private_segment_size 0
		.amdhsa_uses_dynamic_stack 0
		.amdhsa_system_sgpr_private_segment_wavefront_offset 0
		.amdhsa_system_sgpr_workgroup_id_x 1
		.amdhsa_system_sgpr_workgroup_id_y 0
		.amdhsa_system_sgpr_workgroup_id_z 0
		.amdhsa_system_sgpr_workgroup_info 0
		.amdhsa_system_vgpr_workitem_id 0
		.amdhsa_next_free_vgpr 5
		.amdhsa_next_free_sgpr 8
		.amdhsa_accum_offset 8
		.amdhsa_reserve_vcc 1
		.amdhsa_reserve_flat_scratch 0
		.amdhsa_float_round_mode_32 0
		.amdhsa_float_round_mode_16_64 0
		.amdhsa_float_denorm_mode_32 3
		.amdhsa_float_denorm_mode_16_64 3
		.amdhsa_dx10_clamp 1
		.amdhsa_ieee_mode 1
		.amdhsa_fp16_overflow 0
		.amdhsa_tg_split 0
		.amdhsa_exception_fp_ieee_invalid_op 0
		.amdhsa_exception_fp_denorm_src 0
		.amdhsa_exception_fp_ieee_div_zero 0
		.amdhsa_exception_fp_ieee_overflow 0
		.amdhsa_exception_fp_ieee_underflow 0
		.amdhsa_exception_fp_ieee_inexact 0
		.amdhsa_exception_int_div_zero 0
	.end_amdhsa_kernel
	.section	.text._Z19uniform_fill_kernelI14__hip_bfloat16EvPT_mffj,"axG",@progbits,_Z19uniform_fill_kernelI14__hip_bfloat16EvPT_mffj,comdat
.Lfunc_end4:
	.size	_Z19uniform_fill_kernelI14__hip_bfloat16EvPT_mffj, .Lfunc_end4-_Z19uniform_fill_kernelI14__hip_bfloat16EvPT_mffj
                                        ; -- End function
	.section	.AMDGPU.csdata,"",@progbits
; Kernel info:
; codeLenInByte = 240
; NumSgprs: 12
; NumVgprs: 5
; NumAgprs: 0
; TotalNumVgprs: 5
; ScratchSize: 0
; MemoryBound: 0
; FloatMode: 240
; IeeeMode: 1
; LDSByteSize: 0 bytes/workgroup (compile time only)
; SGPRBlocks: 1
; VGPRBlocks: 0
; NumSGPRsForWavesPerEU: 12
; NumVGPRsForWavesPerEU: 5
; AccumOffset: 8
; Occupancy: 8
; WaveLimiterHint : 0
; COMPUTE_PGM_RSRC2:SCRATCH_EN: 0
; COMPUTE_PGM_RSRC2:USER_SGPR: 6
; COMPUTE_PGM_RSRC2:TRAP_HANDLER: 0
; COMPUTE_PGM_RSRC2:TGID_X_EN: 1
; COMPUTE_PGM_RSRC2:TGID_Y_EN: 0
; COMPUTE_PGM_RSRC2:TGID_Z_EN: 0
; COMPUTE_PGM_RSRC2:TIDIG_COMP_CNT: 0
; COMPUTE_PGM_RSRC3_GFX90A:ACCUM_OFFSET: 1
; COMPUTE_PGM_RSRC3_GFX90A:TG_SPLIT: 0
	.section	.text._Z24merge_attn_states_kernelI14__hip_bfloat16Lj128EEvPT_PKS1_S4_PfPKfS7_jjj,"axG",@progbits,_Z24merge_attn_states_kernelI14__hip_bfloat16Lj128EEvPT_PKS1_S4_PfPKfS7_jjj,comdat
	.protected	_Z24merge_attn_states_kernelI14__hip_bfloat16Lj128EEvPT_PKS1_S4_PfPKfS7_jjj ; -- Begin function _Z24merge_attn_states_kernelI14__hip_bfloat16Lj128EEvPT_PKS1_S4_PfPKfS7_jjj
	.globl	_Z24merge_attn_states_kernelI14__hip_bfloat16Lj128EEvPT_PKS1_S4_PfPKfS7_jjj
	.p2align	8
	.type	_Z24merge_attn_states_kernelI14__hip_bfloat16Lj128EEvPT_PKS1_S4_PfPKfS7_jjj,@function
_Z24merge_attn_states_kernelI14__hip_bfloat16Lj128EEvPT_PKS1_S4_PfPKfS7_jjj: ; @_Z24merge_attn_states_kernelI14__hip_bfloat16Lj128EEvPT_PKS1_S4_PfPKfS7_jjj
; %bb.0:
	s_load_dwordx4 s[0:3], s[4:5], 0x30
	v_lshl_add_u32 v2, s6, 7, v0
	s_waitcnt lgkmcnt(0)
	s_lshr_b32 s6, s2, 3
	s_mul_i32 s0, s1, s0
	s_mul_i32 s0, s0, s6
	v_cmp_gt_u32_e32 vcc, s0, v2
	s_and_saveexec_b64 s[0:1], vcc
	s_cbranch_execz .LBB5_37
; %bb.1:
	v_cvt_f32_u32_e32 v0, s6
	s_sub_i32 s3, 0, s6
	s_load_dwordx4 s[8:11], s[4:5], 0x18
	s_load_dwordx2 s[0:1], s[4:5], 0x28
	v_mov_b32_e32 v1, 0
	v_rcp_iflag_f32_e32 v0, v0
	v_mov_b32_e32 v7, 0xff800000
	v_mov_b32_e32 v11, 0x7f800000
	s_waitcnt lgkmcnt(0)
	v_mov_b32_e32 v5, s1
	v_mul_f32_e32 v0, 0x4f7ffffe, v0
	v_cvt_u32_f32_e32 v0, v0
	s_mov_b32 s1, 0xc2ce8ed0
	s_mov_b32 s7, 0x42b17218
	v_mul_lo_u32 v3, s3, v0
	v_mul_hi_u32 v3, v0, v3
	v_add_u32_e32 v0, v0, v3
	v_mul_hi_u32 v0, v2, v0
	v_mul_lo_u32 v3, v0, s6
	v_sub_u32_e32 v3, v2, v3
	v_add_u32_e32 v4, 1, v0
	v_cmp_le_u32_e32 vcc, s6, v3
	v_cndmask_b32_e32 v0, v0, v4, vcc
	v_subrev_u32_e32 v4, s6, v3
	v_cndmask_b32_e32 v3, v3, v4, vcc
	v_add_u32_e32 v4, 1, v0
	v_cmp_le_u32_e32 vcc, s6, v3
	v_cndmask_b32_e32 v0, v0, v4, vcc
	v_lshlrev_b64 v[8:9], 2, v[0:1]
	v_add_co_u32_e32 v4, vcc, s0, v8
	v_addc_co_u32_e32 v5, vcc, v5, v9, vcc
	v_mov_b32_e32 v3, s11
	global_load_dword v6, v[4:5], off
	v_add_co_u32_e32 v4, vcc, s10, v8
	v_addc_co_u32_e32 v5, vcc, v3, v9, vcc
	global_load_dword v3, v[4:5], off
	v_mov_b32_e32 v4, 0x204
	s_mov_b32 s0, 0x3fb8aa3b
	v_mul_lo_u32 v12, v0, s6
	s_mov_b32 s3, 0x7f800000
	s_waitcnt vmcnt(1)
	v_cmp_class_f32_e32 vcc, v6, v4
	v_cndmask_b32_e32 v5, v6, v7, vcc
	s_waitcnt vmcnt(0)
	v_cmp_class_f32_e32 vcc, v3, v4
	v_cndmask_b32_e32 v4, v3, v7, vcc
	v_max_f32_e32 v3, v5, v5
	v_max_f32_e32 v6, v4, v4
	;; [unrolled: 1-line block ×3, first 2 shown]
	v_pk_add_f32 v[4:5], v[4:5], v[10:11] op_sel_hi:[1,0] neg_lo:[0,1] neg_hi:[0,1]
	v_mul_f32_e32 v3, 0x3fb8aa3b, v5
	v_mul_f32_e32 v6, 0x3fb8aa3b, v4
	v_fma_f32 v7, v5, s0, -v3
	v_rndne_f32_e32 v13, v3
	v_fma_f32 v14, v4, s0, -v6
	v_rndne_f32_e32 v15, v6
	v_fmac_f32_e32 v7, 0x32a5705f, v5
	v_sub_f32_e32 v3, v3, v13
	v_fmac_f32_e32 v14, 0x32a5705f, v4
	v_sub_f32_e32 v6, v6, v15
	v_add_f32_e32 v3, v3, v7
	v_cvt_i32_f32_e32 v13, v13
	v_add_f32_e32 v6, v6, v14
	v_exp_f32_e32 v3, v3
	v_cvt_i32_f32_e32 v15, v15
	v_exp_f32_e32 v6, v6
	v_sub_u32_e32 v14, v2, v12
	v_ldexp_f32 v2, v3, v13
	v_cmp_ngt_f32_e32 vcc, s1, v5
	v_ldexp_f32 v3, v6, v15
	v_cndmask_b32_e32 v2, 0, v2, vcc
	v_cmp_ngt_f32_e32 vcc, s1, v4
	v_cndmask_b32_e32 v3, 0, v3, vcc
	v_cmp_nlt_f32_e32 vcc, s7, v5
	v_cndmask_b32_e32 v21, v11, v2, vcc
	v_cmp_nlt_f32_e32 vcc, s7, v4
	v_lshlrev_b32_e32 v7, 3, v14
	v_cndmask_b32_e32 v20, v11, v3, vcc
	v_mov_b32_e32 v2, v21
	v_pk_add_f32 v[12:13], v[20:21], v[2:3] op_sel_hi:[1,0]
	v_cmp_gt_u32_e32 vcc, s2, v7
	s_and_saveexec_b64 s[6:7], vcc
	s_cbranch_execz .LBB5_35
; %bb.2:
	s_load_dwordx4 s[12:15], s[4:5], 0x8
	v_mul_lo_u32 v0, v0, s2
	v_lshlrev_b64 v[16:17], 1, v[0:1]
	v_mov_b32_e32 v15, v1
	v_lshlrev_b64 v[18:19], 4, v[14:15]
	s_waitcnt lgkmcnt(0)
	v_mov_b32_e32 v0, s15
	v_add_co_u32_e32 v4, vcc, s14, v16
	v_addc_co_u32_e32 v5, vcc, v0, v17, vcc
	v_mov_b32_e32 v0, s13
	v_add_co_u32_e32 v2, vcc, s12, v16
	v_addc_co_u32_e32 v3, vcc, v0, v17, vcc
	v_add_co_u32_e32 v0, vcc, v2, v18
	v_addc_co_u32_e32 v1, vcc, v3, v19, vcc
	;; [unrolled: 2-line block ×3, first 2 shown]
	global_load_dwordx4 v[4:7], v[4:5], off
	v_div_scale_f32 v11, s[0:1], v12, v12, v21
	global_load_dwordx4 v[0:3], v[0:1], off
	v_div_scale_f32 v15, s[0:1], v12, v12, v20
	v_rcp_f32_e32 v22, v11
	v_rcp_f32_e32 v23, v15
	v_div_scale_f32 v13, vcc, v21, v12, v21
	v_fma_f32 v25, -v11, v22, 1.0
	v_fma_f32 v26, -v15, v23, 1.0
	v_fmac_f32_e32 v22, v25, v22
	v_div_scale_f32 v24, s[0:1], v20, v12, v20
	v_fmac_f32_e32 v23, v26, v23
	v_mul_f32_e32 v25, v13, v22
	v_mul_f32_e32 v26, v24, v23
	v_fma_f32 v27, -v11, v25, v13
	v_fma_f32 v28, -v15, v26, v24
	v_fmac_f32_e32 v25, v27, v22
	v_fmac_f32_e32 v26, v28, v23
	v_fma_f32 v11, -v11, v25, v13
	v_fma_f32 v13, -v15, v26, v24
	v_div_fmas_f32 v11, v11, v22, v25
	s_mov_b64 vcc, s[0:1]
	v_div_fixup_f32 v21, v11, v12, v21
	v_div_fmas_f32 v11, v13, v23, v26
	v_div_fixup_f32 v20, v11, v12, v20
	s_waitcnt vmcnt(1)
	v_lshlrev_b32_e32 v13, 16, v4
	v_mul_f32_e32 v13, v21, v13
	s_waitcnt vmcnt(0)
	v_lshlrev_b32_e32 v11, 16, v0
	v_fmac_f32_e32 v13, v20, v11
	v_and_b32_e32 v11, 0x7f800000, v13
	v_cmp_ne_u32_e32 vcc, s3, v11
                                        ; implicit-def: $vgpr11
	s_and_saveexec_b64 s[0:1], vcc
	s_xor_b64 s[0:1], exec, s[0:1]
; %bb.3:
	v_bfe_u32 v11, v13, 16, 1
	s_movk_i32 s2, 0x7fff
	v_add3_u32 v11, v13, v11, s2
                                        ; implicit-def: $vgpr13
; %bb.4:
	s_andn2_saveexec_b64 s[0:1], s[0:1]
; %bb.5:
	v_mov_b32_e32 v11, 0
	v_or_b32_e32 v15, 0x10000, v13
	v_cmp_eq_u32_sdwa vcc, v13, v11 src0_sel:WORD_0 src1_sel:DWORD
	v_cndmask_b32_e32 v11, v15, v13, vcc
; %bb.6:
	s_or_b64 exec, exec, s[0:1]
	v_and_b32_e32 v13, 0xffff0000, v0
	v_and_b32_e32 v0, 0xffff0000, v4
	v_mul_f32_e32 v0, v21, v0
	v_fmac_f32_e32 v0, v20, v13
	s_mov_b32 s0, 0x7f800000
	v_and_b32_e32 v4, 0x7f800000, v0
	v_cmp_ne_u32_e32 vcc, s0, v4
                                        ; implicit-def: $vgpr4
	s_and_saveexec_b64 s[0:1], vcc
	s_xor_b64 s[0:1], exec, s[0:1]
; %bb.7:
	v_bfe_u32 v4, v0, 16, 1
	s_movk_i32 s2, 0x7fff
	v_add3_u32 v4, v0, v4, s2
                                        ; implicit-def: $vgpr0
; %bb.8:
	s_andn2_saveexec_b64 s[0:1], s[0:1]
; %bb.9:
	v_mov_b32_e32 v4, 0
	v_or_b32_e32 v13, 0x10000, v0
	v_cmp_eq_u32_sdwa vcc, v0, v4 src0_sel:WORD_0 src1_sel:DWORD
	v_cndmask_b32_e32 v4, v13, v0, vcc
; %bb.10:
	s_or_b64 exec, exec, s[0:1]
	v_lshlrev_b32_e32 v0, 16, v5
	v_lshlrev_b32_e32 v13, 16, v1
	v_mul_f32_e32 v0, v21, v0
	v_fmac_f32_e32 v0, v20, v13
	s_mov_b32 s0, 0x7f800000
	v_and_b32_e32 v13, 0x7f800000, v0
	v_cmp_ne_u32_e32 vcc, s0, v13
                                        ; implicit-def: $vgpr13
	s_and_saveexec_b64 s[0:1], vcc
	s_xor_b64 s[0:1], exec, s[0:1]
; %bb.11:
	v_bfe_u32 v13, v0, 16, 1
	s_movk_i32 s2, 0x7fff
	v_add3_u32 v13, v0, v13, s2
                                        ; implicit-def: $vgpr0
; %bb.12:
	s_andn2_saveexec_b64 s[0:1], s[0:1]
; %bb.13:
	v_mov_b32_e32 v13, 0
	v_or_b32_e32 v15, 0x10000, v0
	v_cmp_eq_u32_sdwa vcc, v0, v13 src0_sel:WORD_0 src1_sel:DWORD
	v_cndmask_b32_e32 v13, v15, v0, vcc
; %bb.14:
	s_or_b64 exec, exec, s[0:1]
	v_and_b32_e32 v0, 0xffff0000, v5
	v_and_b32_e32 v1, 0xffff0000, v1
	v_mul_f32_e32 v0, v21, v0
	v_fmac_f32_e32 v0, v20, v1
	s_mov_b32 s0, 0x7f800000
	v_and_b32_e32 v1, 0x7f800000, v0
	v_cmp_ne_u32_e32 vcc, s0, v1
                                        ; implicit-def: $vgpr5
	s_and_saveexec_b64 s[0:1], vcc
	s_xor_b64 s[0:1], exec, s[0:1]
; %bb.15:
	v_bfe_u32 v1, v0, 16, 1
	s_movk_i32 s2, 0x7fff
	v_add3_u32 v5, v0, v1, s2
                                        ; implicit-def: $vgpr0
; %bb.16:
	s_andn2_saveexec_b64 s[0:1], s[0:1]
; %bb.17:
	v_mov_b32_e32 v1, 0
	v_or_b32_e32 v5, 0x10000, v0
	v_cmp_eq_u32_sdwa vcc, v0, v1 src0_sel:WORD_0 src1_sel:DWORD
	v_cndmask_b32_e32 v5, v5, v0, vcc
; %bb.18:
	s_or_b64 exec, exec, s[0:1]
	v_lshlrev_b32_e32 v0, 16, v6
	v_lshlrev_b32_e32 v1, 16, v2
	v_mul_f32_e32 v0, v21, v0
	v_fmac_f32_e32 v0, v20, v1
	s_mov_b32 s0, 0x7f800000
	v_and_b32_e32 v1, 0x7f800000, v0
	v_cmp_ne_u32_e32 vcc, s0, v1
                                        ; implicit-def: $vgpr15
	s_and_saveexec_b64 s[0:1], vcc
	s_xor_b64 s[0:1], exec, s[0:1]
; %bb.19:
	v_bfe_u32 v1, v0, 16, 1
	s_movk_i32 s2, 0x7fff
	v_add3_u32 v15, v0, v1, s2
                                        ; implicit-def: $vgpr0
; %bb.20:
	s_andn2_saveexec_b64 s[0:1], s[0:1]
; %bb.21:
	v_mov_b32_e32 v1, 0
	v_or_b32_e32 v15, 0x10000, v0
	v_cmp_eq_u32_sdwa vcc, v0, v1 src0_sel:WORD_0 src1_sel:DWORD
	v_cndmask_b32_e32 v15, v15, v0, vcc
; %bb.22:
	s_or_b64 exec, exec, s[0:1]
	v_and_b32_e32 v0, 0xffff0000, v6
	v_and_b32_e32 v1, 0xffff0000, v2
	v_mul_f32_e32 v0, v21, v0
	v_fmac_f32_e32 v0, v20, v1
	s_mov_b32 s0, 0x7f800000
	v_and_b32_e32 v1, 0x7f800000, v0
	v_cmp_ne_u32_e32 vcc, s0, v1
                                        ; implicit-def: $vgpr2
	s_and_saveexec_b64 s[0:1], vcc
	s_xor_b64 s[0:1], exec, s[0:1]
; %bb.23:
	v_bfe_u32 v1, v0, 16, 1
	s_movk_i32 s2, 0x7fff
	v_add3_u32 v2, v0, v1, s2
                                        ; implicit-def: $vgpr0
; %bb.24:
	s_andn2_saveexec_b64 s[0:1], s[0:1]
; %bb.25:
	v_mov_b32_e32 v1, 0
	v_or_b32_e32 v2, 0x10000, v0
	v_cmp_eq_u32_sdwa vcc, v0, v1 src0_sel:WORD_0 src1_sel:DWORD
	v_cndmask_b32_e32 v2, v2, v0, vcc
; %bb.26:
	s_or_b64 exec, exec, s[0:1]
	v_lshlrev_b32_e32 v0, 16, v7
	v_lshlrev_b32_e32 v1, 16, v3
	v_mul_f32_e32 v0, v21, v0
	v_fmac_f32_e32 v0, v20, v1
	s_mov_b32 s0, 0x7f800000
	v_and_b32_e32 v1, 0x7f800000, v0
	v_cmp_ne_u32_e32 vcc, s0, v1
                                        ; implicit-def: $vgpr6
	s_and_saveexec_b64 s[0:1], vcc
	s_xor_b64 s[0:1], exec, s[0:1]
; %bb.27:
	v_bfe_u32 v1, v0, 16, 1
	s_movk_i32 s2, 0x7fff
	v_add3_u32 v6, v0, v1, s2
                                        ; implicit-def: $vgpr0
; %bb.28:
	s_andn2_saveexec_b64 s[0:1], s[0:1]
; %bb.29:
	v_mov_b32_e32 v1, 0
	v_or_b32_e32 v6, 0x10000, v0
	v_cmp_eq_u32_sdwa vcc, v0, v1 src0_sel:WORD_0 src1_sel:DWORD
	v_cndmask_b32_e32 v6, v6, v0, vcc
; %bb.30:
	s_or_b64 exec, exec, s[0:1]
	v_and_b32_e32 v1, 0xffff0000, v7
	v_and_b32_e32 v0, 0xffff0000, v3
	s_load_dwordx2 s[0:1], s[4:5], 0x0
	v_pk_mul_f32 v[22:23], v[20:21], v[0:1]
	v_mov_b32_e32 v22, v23
	v_pk_fma_f32 v[0:1], v[20:21], v[0:1], v[22:23]
	s_mov_b32 s2, 0x7f800000
	v_and_b32_e32 v1, 0x7f800000, v0
	v_cmp_ne_u32_e32 vcc, s2, v1
                                        ; implicit-def: $vgpr3
	s_and_saveexec_b64 s[2:3], vcc
	s_xor_b64 s[2:3], exec, s[2:3]
; %bb.31:
	v_bfe_u32 v1, v0, 16, 1
	s_movk_i32 s4, 0x7fff
	v_add3_u32 v3, v0, v1, s4
                                        ; implicit-def: $vgpr0_vgpr1
; %bb.32:
	s_andn2_saveexec_b64 s[2:3], s[2:3]
; %bb.33:
	v_mov_b32_e32 v1, 0
	v_or_b32_e32 v3, 0x10000, v0
	v_cmp_eq_u32_sdwa vcc, v0, v1 src0_sel:WORD_0 src1_sel:DWORD
	v_cndmask_b32_e32 v3, v3, v0, vcc
; %bb.34:
	s_or_b64 exec, exec, s[2:3]
	s_waitcnt lgkmcnt(0)
	v_mov_b32_e32 v0, s1
	v_add_co_u32_e32 v1, vcc, s0, v16
	v_addc_co_u32_e32 v0, vcc, v0, v17, vcc
	v_add_co_u32_e32 v16, vcc, v1, v18
	s_mov_b32 s0, 0x7060302
	v_addc_co_u32_e32 v17, vcc, v0, v19, vcc
	v_perm_b32 v3, v3, v6, s0
	v_perm_b32 v2, v2, v15, s0
	;; [unrolled: 1-line block ×4, first 2 shown]
	global_store_dwordx4 v[16:17], v[0:3], off
.LBB5_35:
	s_or_b64 exec, exec, s[6:7]
	s_cmp_lg_u64 s[8:9], 0
	s_cselect_b64 s[0:1], -1, 0
	v_cmp_eq_u32_e32 vcc, 0, v14
	s_and_b64 s[0:1], s[0:1], vcc
	s_and_b64 exec, exec, s[0:1]
	s_cbranch_execz .LBB5_37
; %bb.36:
	s_mov_b32 s0, 0x800000
	v_mov_b32_e32 v0, 0x4f800000
	v_cmp_gt_f32_e32 vcc, s0, v12
	v_cndmask_b32_e32 v0, 1.0, v0, vcc
	v_mul_f32_e32 v0, v12, v0
	v_log_f32_e32 v2, v0
	v_mov_b32_e32 v1, s9
	v_add_co_u32_e64 v0, s[0:1], s8, v8
	v_addc_co_u32_e64 v1, s[0:1], v1, v9, s[0:1]
	s_mov_b32 s0, 0x3f317217
	v_mul_f32_e32 v3, 0x3f317217, v2
	v_fma_f32 v4, v2, s0, -v3
	v_fmac_f32_e32 v4, 0x3377d1cf, v2
	s_mov_b32 s0, 0x7f800000
	v_add_f32_e32 v3, v3, v4
	v_cmp_lt_f32_e64 s[0:1], |v2|, s0
	v_cndmask_b32_e64 v2, v2, v3, s[0:1]
	v_mov_b32_e32 v3, 0x41b17218
	v_cndmask_b32_e32 v3, 0, v3, vcc
	v_sub_f32_e32 v2, v2, v3
	v_add_f32_e32 v2, v10, v2
	global_store_dword v[0:1], v2, off
.LBB5_37:
	s_endpgm
	.section	.rodata,"a",@progbits
	.p2align	6, 0x0
	.amdhsa_kernel _Z24merge_attn_states_kernelI14__hip_bfloat16Lj128EEvPT_PKS1_S4_PfPKfS7_jjj
		.amdhsa_group_segment_fixed_size 0
		.amdhsa_private_segment_fixed_size 0
		.amdhsa_kernarg_size 60
		.amdhsa_user_sgpr_count 6
		.amdhsa_user_sgpr_private_segment_buffer 1
		.amdhsa_user_sgpr_dispatch_ptr 0
		.amdhsa_user_sgpr_queue_ptr 0
		.amdhsa_user_sgpr_kernarg_segment_ptr 1
		.amdhsa_user_sgpr_dispatch_id 0
		.amdhsa_user_sgpr_flat_scratch_init 0
		.amdhsa_user_sgpr_kernarg_preload_length 0
		.amdhsa_user_sgpr_kernarg_preload_offset 0
		.amdhsa_user_sgpr_private_segment_size 0
		.amdhsa_uses_dynamic_stack 0
		.amdhsa_system_sgpr_private_segment_wavefront_offset 0
		.amdhsa_system_sgpr_workgroup_id_x 1
		.amdhsa_system_sgpr_workgroup_id_y 0
		.amdhsa_system_sgpr_workgroup_id_z 0
		.amdhsa_system_sgpr_workgroup_info 0
		.amdhsa_system_vgpr_workitem_id 0
		.amdhsa_next_free_vgpr 29
		.amdhsa_next_free_sgpr 16
		.amdhsa_accum_offset 32
		.amdhsa_reserve_vcc 1
		.amdhsa_reserve_flat_scratch 0
		.amdhsa_float_round_mode_32 0
		.amdhsa_float_round_mode_16_64 0
		.amdhsa_float_denorm_mode_32 3
		.amdhsa_float_denorm_mode_16_64 3
		.amdhsa_dx10_clamp 1
		.amdhsa_ieee_mode 1
		.amdhsa_fp16_overflow 0
		.amdhsa_tg_split 0
		.amdhsa_exception_fp_ieee_invalid_op 0
		.amdhsa_exception_fp_denorm_src 0
		.amdhsa_exception_fp_ieee_div_zero 0
		.amdhsa_exception_fp_ieee_overflow 0
		.amdhsa_exception_fp_ieee_underflow 0
		.amdhsa_exception_fp_ieee_inexact 0
		.amdhsa_exception_int_div_zero 0
	.end_amdhsa_kernel
	.section	.text._Z24merge_attn_states_kernelI14__hip_bfloat16Lj128EEvPT_PKS1_S4_PfPKfS7_jjj,"axG",@progbits,_Z24merge_attn_states_kernelI14__hip_bfloat16Lj128EEvPT_PKS1_S4_PfPKfS7_jjj,comdat
.Lfunc_end5:
	.size	_Z24merge_attn_states_kernelI14__hip_bfloat16Lj128EEvPT_PKS1_S4_PfPKfS7_jjj, .Lfunc_end5-_Z24merge_attn_states_kernelI14__hip_bfloat16Lj128EEvPT_PKS1_S4_PfPKfS7_jjj
                                        ; -- End function
	.section	.AMDGPU.csdata,"",@progbits
; Kernel info:
; codeLenInByte = 1796
; NumSgprs: 20
; NumVgprs: 29
; NumAgprs: 0
; TotalNumVgprs: 29
; ScratchSize: 0
; MemoryBound: 0
; FloatMode: 240
; IeeeMode: 1
; LDSByteSize: 0 bytes/workgroup (compile time only)
; SGPRBlocks: 2
; VGPRBlocks: 3
; NumSGPRsForWavesPerEU: 20
; NumVGPRsForWavesPerEU: 29
; AccumOffset: 32
; Occupancy: 8
; WaveLimiterHint : 0
; COMPUTE_PGM_RSRC2:SCRATCH_EN: 0
; COMPUTE_PGM_RSRC2:USER_SGPR: 6
; COMPUTE_PGM_RSRC2:TRAP_HANDLER: 0
; COMPUTE_PGM_RSRC2:TGID_X_EN: 1
; COMPUTE_PGM_RSRC2:TGID_Y_EN: 0
; COMPUTE_PGM_RSRC2:TGID_Z_EN: 0
; COMPUTE_PGM_RSRC2:TIDIG_COMP_CNT: 0
; COMPUTE_PGM_RSRC3_GFX90A:ACCUM_OFFSET: 7
; COMPUTE_PGM_RSRC3_GFX90A:TG_SPLIT: 0
	.text
	.p2alignl 6, 3212836864
	.fill 256, 4, 3212836864
	.type	__hip_cuid_fac5d5e4ca579df8,@object ; @__hip_cuid_fac5d5e4ca579df8
	.section	.bss,"aw",@nobits
	.globl	__hip_cuid_fac5d5e4ca579df8
__hip_cuid_fac5d5e4ca579df8:
	.byte	0                               ; 0x0
	.size	__hip_cuid_fac5d5e4ca579df8, 1

	.ident	"AMD clang version 19.0.0git (https://github.com/RadeonOpenCompute/llvm-project roc-6.4.0 25133 c7fe45cf4b819c5991fe208aaa96edf142730f1d)"
	.section	".note.GNU-stack","",@progbits
	.addrsig
	.addrsig_sym __hip_cuid_fac5d5e4ca579df8
	.amdgpu_metadata
---
amdhsa.kernels:
  - .agpr_count:     0
    .args:
      - .address_space:  global
        .offset:         0
        .size:           8
        .value_kind:     global_buffer
      - .offset:         8
        .size:           8
        .value_kind:     by_value
      - .offset:         16
        .size:           4
        .value_kind:     by_value
      - .offset:         20
        .size:           4
        .value_kind:     by_value
      - .offset:         24
        .size:           4
        .value_kind:     by_value
      - .offset:         32
        .size:           4
        .value_kind:     hidden_block_count_x
      - .offset:         36
        .size:           4
        .value_kind:     hidden_block_count_y
      - .offset:         40
        .size:           4
        .value_kind:     hidden_block_count_z
      - .offset:         44
        .size:           2
        .value_kind:     hidden_group_size_x
      - .offset:         46
        .size:           2
        .value_kind:     hidden_group_size_y
      - .offset:         48
        .size:           2
        .value_kind:     hidden_group_size_z
      - .offset:         50
        .size:           2
        .value_kind:     hidden_remainder_x
      - .offset:         52
        .size:           2
        .value_kind:     hidden_remainder_y
      - .offset:         54
        .size:           2
        .value_kind:     hidden_remainder_z
      - .offset:         72
        .size:           8
        .value_kind:     hidden_global_offset_x
      - .offset:         80
        .size:           8
        .value_kind:     hidden_global_offset_y
      - .offset:         88
        .size:           8
        .value_kind:     hidden_global_offset_z
      - .offset:         96
        .size:           2
        .value_kind:     hidden_grid_dims
    .group_segment_fixed_size: 0
    .kernarg_segment_align: 8
    .kernarg_segment_size: 288
    .language:       OpenCL C
    .language_version:
      - 2
      - 0
    .max_flat_workgroup_size: 1024
    .name:           _Z19uniform_fill_kernelIfEvPT_mffj
    .private_segment_fixed_size: 0
    .sgpr_count:     12
    .sgpr_spill_count: 0
    .symbol:         _Z19uniform_fill_kernelIfEvPT_mffj.kd
    .uniform_work_group_size: 1
    .uses_dynamic_stack: false
    .vgpr_count:     5
    .vgpr_spill_count: 0
    .wavefront_size: 64
  - .agpr_count:     0
    .args:
      - .actual_access:  write_only
        .address_space:  global
        .offset:         0
        .size:           8
        .value_kind:     global_buffer
      - .actual_access:  read_only
        .address_space:  global
        .offset:         8
        .size:           8
        .value_kind:     global_buffer
      - .actual_access:  read_only
        .address_space:  global
        .offset:         16
        .size:           8
        .value_kind:     global_buffer
      - .actual_access:  write_only
        .address_space:  global
        .offset:         24
        .size:           8
        .value_kind:     global_buffer
      - .actual_access:  read_only
        .address_space:  global
        .offset:         32
        .size:           8
        .value_kind:     global_buffer
      - .actual_access:  read_only
        .address_space:  global
        .offset:         40
        .size:           8
        .value_kind:     global_buffer
      - .offset:         48
        .size:           4
        .value_kind:     by_value
      - .offset:         52
        .size:           4
        .value_kind:     by_value
      - .offset:         56
        .size:           4
        .value_kind:     by_value
    .group_segment_fixed_size: 0
    .kernarg_segment_align: 8
    .kernarg_segment_size: 60
    .language:       OpenCL C
    .language_version:
      - 2
      - 0
    .max_flat_workgroup_size: 1024
    .name:           _Z24merge_attn_states_kernelIfLj128EEvPT_PKS0_S3_PfPKfS6_jjj
    .private_segment_fixed_size: 0
    .sgpr_count:     20
    .sgpr_spill_count: 0
    .symbol:         _Z24merge_attn_states_kernelIfLj128EEvPT_PKS0_S3_PfPKfS6_jjj.kd
    .uniform_work_group_size: 1
    .uses_dynamic_stack: false
    .vgpr_count:     28
    .vgpr_spill_count: 0
    .wavefront_size: 64
  - .agpr_count:     0
    .args:
      - .address_space:  global
        .offset:         0
        .size:           8
        .value_kind:     global_buffer
      - .offset:         8
        .size:           8
        .value_kind:     by_value
      - .offset:         16
        .size:           4
        .value_kind:     by_value
      - .offset:         20
        .size:           4
        .value_kind:     by_value
      - .offset:         24
        .size:           4
        .value_kind:     by_value
      - .offset:         32
        .size:           4
        .value_kind:     hidden_block_count_x
      - .offset:         36
        .size:           4
        .value_kind:     hidden_block_count_y
      - .offset:         40
        .size:           4
        .value_kind:     hidden_block_count_z
      - .offset:         44
        .size:           2
        .value_kind:     hidden_group_size_x
      - .offset:         46
        .size:           2
        .value_kind:     hidden_group_size_y
      - .offset:         48
        .size:           2
        .value_kind:     hidden_group_size_z
      - .offset:         50
        .size:           2
        .value_kind:     hidden_remainder_x
      - .offset:         52
        .size:           2
        .value_kind:     hidden_remainder_y
      - .offset:         54
        .size:           2
        .value_kind:     hidden_remainder_z
      - .offset:         72
        .size:           8
        .value_kind:     hidden_global_offset_x
      - .offset:         80
        .size:           8
        .value_kind:     hidden_global_offset_y
      - .offset:         88
        .size:           8
        .value_kind:     hidden_global_offset_z
      - .offset:         96
        .size:           2
        .value_kind:     hidden_grid_dims
    .group_segment_fixed_size: 0
    .kernarg_segment_align: 8
    .kernarg_segment_size: 288
    .language:       OpenCL C
    .language_version:
      - 2
      - 0
    .max_flat_workgroup_size: 1024
    .name:           _Z19uniform_fill_kernelI6__halfEvPT_mffj
    .private_segment_fixed_size: 0
    .sgpr_count:     12
    .sgpr_spill_count: 0
    .symbol:         _Z19uniform_fill_kernelI6__halfEvPT_mffj.kd
    .uniform_work_group_size: 1
    .uses_dynamic_stack: false
    .vgpr_count:     5
    .vgpr_spill_count: 0
    .wavefront_size: 64
  - .agpr_count:     0
    .args:
      - .actual_access:  write_only
        .address_space:  global
        .offset:         0
        .size:           8
        .value_kind:     global_buffer
      - .actual_access:  read_only
        .address_space:  global
        .offset:         8
        .size:           8
        .value_kind:     global_buffer
      - .actual_access:  read_only
        .address_space:  global
        .offset:         16
        .size:           8
        .value_kind:     global_buffer
      - .actual_access:  write_only
        .address_space:  global
        .offset:         24
        .size:           8
        .value_kind:     global_buffer
      - .actual_access:  read_only
        .address_space:  global
        .offset:         32
        .size:           8
        .value_kind:     global_buffer
      - .actual_access:  read_only
        .address_space:  global
        .offset:         40
        .size:           8
        .value_kind:     global_buffer
      - .offset:         48
        .size:           4
        .value_kind:     by_value
      - .offset:         52
        .size:           4
        .value_kind:     by_value
      - .offset:         56
        .size:           4
        .value_kind:     by_value
    .group_segment_fixed_size: 0
    .kernarg_segment_align: 8
    .kernarg_segment_size: 60
    .language:       OpenCL C
    .language_version:
      - 2
      - 0
    .max_flat_workgroup_size: 1024
    .name:           _Z24merge_attn_states_kernelI6__halfLj128EEvPT_PKS1_S4_PfPKfS7_jjj
    .private_segment_fixed_size: 0
    .sgpr_count:     20
    .sgpr_spill_count: 0
    .symbol:         _Z24merge_attn_states_kernelI6__halfLj128EEvPT_PKS1_S4_PfPKfS7_jjj.kd
    .uniform_work_group_size: 1
    .uses_dynamic_stack: false
    .vgpr_count:     28
    .vgpr_spill_count: 0
    .wavefront_size: 64
  - .agpr_count:     0
    .args:
      - .address_space:  global
        .offset:         0
        .size:           8
        .value_kind:     global_buffer
      - .offset:         8
        .size:           8
        .value_kind:     by_value
      - .offset:         16
        .size:           4
        .value_kind:     by_value
      - .offset:         20
        .size:           4
        .value_kind:     by_value
      - .offset:         24
        .size:           4
        .value_kind:     by_value
      - .offset:         32
        .size:           4
        .value_kind:     hidden_block_count_x
      - .offset:         36
        .size:           4
        .value_kind:     hidden_block_count_y
      - .offset:         40
        .size:           4
        .value_kind:     hidden_block_count_z
      - .offset:         44
        .size:           2
        .value_kind:     hidden_group_size_x
      - .offset:         46
        .size:           2
        .value_kind:     hidden_group_size_y
      - .offset:         48
        .size:           2
        .value_kind:     hidden_group_size_z
      - .offset:         50
        .size:           2
        .value_kind:     hidden_remainder_x
      - .offset:         52
        .size:           2
        .value_kind:     hidden_remainder_y
      - .offset:         54
        .size:           2
        .value_kind:     hidden_remainder_z
      - .offset:         72
        .size:           8
        .value_kind:     hidden_global_offset_x
      - .offset:         80
        .size:           8
        .value_kind:     hidden_global_offset_y
      - .offset:         88
        .size:           8
        .value_kind:     hidden_global_offset_z
      - .offset:         96
        .size:           2
        .value_kind:     hidden_grid_dims
    .group_segment_fixed_size: 0
    .kernarg_segment_align: 8
    .kernarg_segment_size: 288
    .language:       OpenCL C
    .language_version:
      - 2
      - 0
    .max_flat_workgroup_size: 1024
    .name:           _Z19uniform_fill_kernelI14__hip_bfloat16EvPT_mffj
    .private_segment_fixed_size: 0
    .sgpr_count:     12
    .sgpr_spill_count: 0
    .symbol:         _Z19uniform_fill_kernelI14__hip_bfloat16EvPT_mffj.kd
    .uniform_work_group_size: 1
    .uses_dynamic_stack: false
    .vgpr_count:     5
    .vgpr_spill_count: 0
    .wavefront_size: 64
  - .agpr_count:     0
    .args:
      - .actual_access:  write_only
        .address_space:  global
        .offset:         0
        .size:           8
        .value_kind:     global_buffer
      - .actual_access:  read_only
        .address_space:  global
        .offset:         8
        .size:           8
        .value_kind:     global_buffer
      - .actual_access:  read_only
        .address_space:  global
        .offset:         16
        .size:           8
        .value_kind:     global_buffer
      - .actual_access:  write_only
        .address_space:  global
        .offset:         24
        .size:           8
        .value_kind:     global_buffer
      - .actual_access:  read_only
        .address_space:  global
        .offset:         32
        .size:           8
        .value_kind:     global_buffer
      - .actual_access:  read_only
        .address_space:  global
        .offset:         40
        .size:           8
        .value_kind:     global_buffer
      - .offset:         48
        .size:           4
        .value_kind:     by_value
      - .offset:         52
        .size:           4
        .value_kind:     by_value
      - .offset:         56
        .size:           4
        .value_kind:     by_value
    .group_segment_fixed_size: 0
    .kernarg_segment_align: 8
    .kernarg_segment_size: 60
    .language:       OpenCL C
    .language_version:
      - 2
      - 0
    .max_flat_workgroup_size: 1024
    .name:           _Z24merge_attn_states_kernelI14__hip_bfloat16Lj128EEvPT_PKS1_S4_PfPKfS7_jjj
    .private_segment_fixed_size: 0
    .sgpr_count:     20
    .sgpr_spill_count: 0
    .symbol:         _Z24merge_attn_states_kernelI14__hip_bfloat16Lj128EEvPT_PKS1_S4_PfPKfS7_jjj.kd
    .uniform_work_group_size: 1
    .uses_dynamic_stack: false
    .vgpr_count:     29
    .vgpr_spill_count: 0
    .wavefront_size: 64
amdhsa.target:   amdgcn-amd-amdhsa--gfx90a
amdhsa.version:
  - 1
  - 2
...

	.end_amdgpu_metadata
